;; amdgpu-corpus repo=ROCm/rocFFT kind=compiled arch=gfx906 opt=O3
	.text
	.amdgcn_target "amdgcn-amd-amdhsa--gfx906"
	.amdhsa_code_object_version 6
	.protected	fft_rtc_back_len625_factors_5_5_5_5_wgs_125_tpt_125_dp_op_CI_CI_sbrc_erc_z_xy_aligned ; -- Begin function fft_rtc_back_len625_factors_5_5_5_5_wgs_125_tpt_125_dp_op_CI_CI_sbrc_erc_z_xy_aligned
	.globl	fft_rtc_back_len625_factors_5_5_5_5_wgs_125_tpt_125_dp_op_CI_CI_sbrc_erc_z_xy_aligned
	.p2align	8
	.type	fft_rtc_back_len625_factors_5_5_5_5_wgs_125_tpt_125_dp_op_CI_CI_sbrc_erc_z_xy_aligned,@function
fft_rtc_back_len625_factors_5_5_5_5_wgs_125_tpt_125_dp_op_CI_CI_sbrc_erc_z_xy_aligned: ; @fft_rtc_back_len625_factors_5_5_5_5_wgs_125_tpt_125_dp_op_CI_CI_sbrc_erc_z_xy_aligned
; %bb.0:
	s_load_dwordx8 s[8:15], s[4:5], 0x0
	v_add_u32_e32 v26, 0xfa, v0
	v_add_u32_e32 v27, 0x177, v0
	v_mov_b32_e32 v57, 6
	v_mov_b32_e32 v58, 4
	s_waitcnt lgkmcnt(0)
	s_load_dwordx4 s[0:3], s[12:13], 0x8
	s_load_dwordx4 s[24:27], s[14:15], 0x0
	s_load_dword s7, s[14:15], 0x10
	s_waitcnt lgkmcnt(0)
	s_mul_i32 s1, s2, s0
	v_cvt_f32_u32_e32 v2, s1
	v_cvt_f32_u32_e32 v1, s0
	s_sub_i32 s2, 0, s1
	v_mov_b32_e32 v9, s26
	v_rcp_iflag_f32_e32 v2, v2
	v_rcp_iflag_f32_e32 v1, v1
	v_mul_f32_e32 v2, 0x4f7ffffe, v2
	v_cvt_u32_f32_e32 v2, v2
	v_mul_f32_e32 v1, 0x4f7ffffe, v1
	v_cvt_u32_f32_e32 v1, v1
	v_readfirstlane_b32 s12, v2
	s_mul_i32 s2, s2, s12
	s_mul_hi_u32 s2, s12, s2
	s_add_i32 s12, s12, s2
	s_mul_hi_u32 s2, s6, s12
	s_mul_i32 s12, s2, s1
	s_sub_i32 s12, s6, s12
	s_add_i32 s13, s2, 1
	s_sub_i32 s16, s12, s1
	s_cmp_ge_u32 s12, s1
	s_cselect_b32 s2, s13, s2
	s_cselect_b32 s12, s16, s12
	s_add_i32 s13, s2, 1
	s_cmp_ge_u32 s12, s1
	v_readfirstlane_b32 s3, v1
	s_cselect_b32 s27, s13, s2
	s_sub_i32 s2, 0, s0
	s_mul_i32 s2, s2, s3
	s_mul_i32 s1, s27, s1
	s_mul_hi_u32 s2, s3, s2
	s_sub_i32 s1, s6, s1
	s_add_i32 s3, s3, s2
	s_mul_hi_u32 s2, s1, s3
	s_mul_i32 s12, s2, s0
	s_sub_i32 s1, s1, s12
	s_add_i32 s13, s2, 1
	s_sub_i32 s12, s1, s0
	s_cmp_ge_u32 s1, s0
	s_cselect_b32 s2, s13, s2
	s_cselect_b32 s1, s12, s1
	s_add_i32 s12, s2, 1
	s_cmp_ge_u32 s1, s0
	s_mul_hi_u32 s1, s6, s3
	s_mul_i32 s1, s1, s0
	s_cselect_b32 s12, s12, s2
	s_sub_i32 s1, s6, s1
	s_sub_i32 s2, s1, s0
	s_cmp_ge_u32 s1, s0
	s_cselect_b32 s1, s2, s1
	s_load_dwordx2 s[2:3], s[4:5], 0x20
	s_load_dwordx4 s[16:19], s[4:5], 0x58
	s_waitcnt lgkmcnt(0)
	s_load_dwordx4 s[20:23], s[2:3], 0x0
	s_sub_i32 s6, s1, s0
	s_cmp_ge_u32 s1, s0
	s_cselect_b32 s28, s6, s1
	s_mul_i32 s0, s12, s7
	s_mul_i32 s1, s28, s26
	s_add_i32 s4, s1, s0
	s_waitcnt lgkmcnt(0)
	s_mul_i32 s0, s21, s28
	s_mul_hi_u32 s1, s20, s28
	s_add_i32 s13, s1, s0
	s_lshl_b64 s[0:1], s[10:11], 3
	s_add_u32 s10, s14, s0
	s_addc_u32 s11, s15, s1
	s_load_dwordx2 s[14:15], s[10:11], 0x0
	s_load_dwordx2 s[6:7], s[2:3], 0x10
	v_add_u32_e32 v1, 0xfffffd8f, v0
	s_mov_b32 s5, 0
	s_waitcnt lgkmcnt(0)
	s_mul_i32 s7, s15, s27
	s_mul_hi_u32 s10, s14, s27
	s_add_i32 s15, s10, s7
	s_add_u32 s0, s2, s0
	s_movk_i32 s2, 0x271
	v_cmp_gt_u32_e32 vcc, s2, v0
	v_cndmask_b32_e32 v25, v1, v0, vcc
	v_mad_u64_u32 v[3:4], s[10:11], s24, v25, 0
	s_addc_u32 s1, s3, s1
	s_load_dwordx2 s[10:11], s[0:1], 0x0
	v_mov_b32_e32 v1, v4
	v_mad_u64_u32 v[1:2], s[0:1], s25, v25, v[1:2]
	s_mul_i32 s14, s14, s27
	s_waitcnt lgkmcnt(0)
	s_mul_i32 s0, s11, s27
	s_mul_hi_u32 s1, s10, s27
	s_add_i32 s11, s1, s0
	s_movk_i32 s0, 0x270
	v_cmp_lt_u32_e32 vcc, s0, v0
	s_lshl_b64 s[0:1], s[14:15], 4
	s_add_u32 s2, s16, s0
	v_mov_b32_e32 v4, v1
	s_addc_u32 s3, s17, s1
	s_lshl_b64 s[0:1], s[4:5], 4
	s_add_u32 s4, s2, s0
	v_lshlrev_b64 v[3:4], 4, v[3:4]
	s_addc_u32 s7, s3, s1
	v_mov_b32_e32 v2, 0
	v_cndmask_b32_e32 v1, 0, v9, vcc
	v_mov_b32_e32 v5, s7
	v_add_co_u32_e64 v6, s[0:1], s4, v3
	v_addc_co_u32_e64 v5, s[0:1], v5, v4, s[0:1]
	v_lshlrev_b64 v[3:4], 4, v[1:2]
	v_mov_b32_e32 v1, 0xfffffe0c
	v_add_co_u32_e64 v11, s[0:1], v6, v3
	v_addc_co_u32_e64 v12, s[0:1], v5, v4, s[0:1]
	s_movk_i32 s0, 0x1f4
	v_mov_b32_e32 v3, 0x7d
	v_cmp_gt_u32_e64 s[0:1], s0, v0
	v_cndmask_b32_e64 v1, v1, v3, s[0:1]
	v_add_u32_e32 v28, v0, v1
	v_mad_u64_u32 v[3:4], s[0:1], s24, v28, 0
	v_mad_u64_u32 v[5:6], s[0:1], s24, v26, 0
	v_mov_b32_e32 v1, v4
	s_movk_i32 s2, 0x1f3
	v_mov_b32_e32 v4, v6
	v_mad_u64_u32 v[6:7], s[0:1], s25, v28, v[1:2]
	v_mad_u64_u32 v[13:14], s[0:1], s24, v27, 0
	;; [unrolled: 1-line block ×3, first 2 shown]
	v_mov_b32_e32 v4, v6
	v_cmp_lt_u32_e64 s[0:1], s2, v0
	v_lshlrev_b64 v[3:4], 4, v[3:4]
	v_cndmask_b32_e64 v1, 0, v9, s[0:1]
	v_lshlrev_b64 v[8:9], 4, v[1:2]
	v_mov_b32_e32 v1, s7
	v_add_co_u32_e64 v3, s[2:3], s4, v3
	v_mov_b32_e32 v6, v7
	v_addc_co_u32_e64 v1, s[2:3], v1, v4, s[2:3]
	v_lshlrev_b64 v[15:16], 4, v[5:6]
	v_add_co_u32_e64 v17, s[2:3], v3, v8
	v_addc_co_u32_e64 v18, s[2:3], v1, v9, s[2:3]
	v_mov_b32_e32 v20, s7
	v_add_co_u32_e64 v19, s[2:3], s4, v15
	v_mov_b32_e32 v1, v14
	global_load_dwordx4 v[3:6], v[11:12], off
	global_load_dwordx4 v[7:10], v[17:18], off
	v_addc_co_u32_e64 v20, s[2:3], v20, v16, s[2:3]
	v_mad_u64_u32 v[11:12], s[2:3], s25, v27, v[1:2]
	v_add_u32_e32 v1, 0x1f4, v0
	v_mul_u32_u24_e32 v12, 0x69, v1
	v_lshrrev_b32_e32 v29, 16, v12
	v_mul_lo_u16_e32 v12, 0x271, v29
	v_sub_u16_e32 v30, v1, v12
	v_mad_u64_u32 v[21:22], s[2:3], s24, v30, 0
	v_mov_b32_e32 v14, v11
	v_lshlrev_b64 v[11:12], 4, v[13:14]
	v_mov_b32_e32 v1, v22
	v_mad_u64_u32 v[22:23], s[2:3], s25, v30, v[1:2]
	v_mov_b32_e32 v13, s7
	v_add_co_u32_e64 v23, s[2:3], s4, v11
	v_mul_lo_u32 v1, s26, v29
	v_addc_co_u32_e64 v24, s[2:3], v13, v12, s[2:3]
	global_load_dwordx4 v[11:14], v[19:20], off
	global_load_dwordx4 v[15:18], v[23:24], off
	v_lshlrev_b64 v[19:20], 4, v[21:22]
	v_mov_b32_e32 v21, s7
	v_add_co_u32_e64 v22, s[2:3], s4, v19
	v_addc_co_u32_e64 v21, s[2:3], v21, v20, s[2:3]
	v_lshlrev_b64 v[19:20], 4, v[1:2]
	v_mov_b32_e32 v1, 0x2720
	v_add_co_u32_e64 v19, s[2:3], v22, v19
	v_addc_co_u32_e64 v20, s[2:3], v21, v20, s[2:3]
	global_load_dwordx4 v[19:22], v[19:20], off
	v_lshlrev_b32_e32 v23, 4, v25
	v_cndmask_b32_e32 v24, 0, v1, vcc
	v_add3_u32 v23, 0, v23, v24
	v_cndmask_b32_e64 v1, 0, v1, s[0:1]
	s_movk_i32 s2, 0x7d
	s_mov_b32 s0, 0x134454ff
	s_mov_b32 s1, 0xbfee6f0e
	;; [unrolled: 1-line block ×7, first 2 shown]
	s_mul_i32 s10, s10, s27
	s_waitcnt vmcnt(4)
	ds_write_b128 v23, v[3:6]
	v_lshlrev_b32_e32 v3, 4, v28
	v_add3_u32 v1, 0, v3, v1
	s_waitcnt vmcnt(3)
	ds_write_b128 v1, v[7:10]
	v_lshl_add_u32 v1, v26, 4, 0
	v_lshlrev_b32_e32 v3, 4, v30
	s_waitcnt vmcnt(2)
	ds_write_b128 v1, v[11:14]
	v_lshl_add_u32 v1, v27, 4, 0
	s_waitcnt vmcnt(1)
	ds_write_b128 v1, v[15:18]
	v_mul_u32_u24_e32 v1, 0x2720, v29
	v_add3_u32 v1, 0, v1, v3
	s_waitcnt vmcnt(0)
	ds_write_b128 v1, v[19:22]
	v_mul_u32_u24_e32 v1, 0x20d, v0
	v_mul_lo_u16_sdwa v1, v1, s2 dst_sel:DWORD dst_unused:UNUSED_PAD src0_sel:WORD_1 src1_sel:DWORD
	v_sub_u16_e32 v4, v0, v1
	v_lshl_add_u32 v3, v4, 4, 0
	s_waitcnt lgkmcnt(0)
	s_barrier
	ds_read_b128 v[5:8], v3
	ds_read_b128 v[9:12], v3 offset:2000
	ds_read_b128 v[13:16], v3 offset:4000
	;; [unrolled: 1-line block ×3, first 2 shown]
	s_mov_b32 s2, 0x4755a5e
	s_mov_b32 s3, 0xbfe2cf23
	;; [unrolled: 1-line block ×3, first 2 shown]
	s_waitcnt lgkmcnt(2)
	v_add_f64 v[21:22], v[5:6], v[9:10]
	v_add_f64 v[23:24], v[7:8], v[11:12]
	s_waitcnt lgkmcnt(0)
	v_add_f64 v[29:30], v[13:14], v[17:18]
	v_add_f64 v[37:38], v[15:16], v[19:20]
	v_add_f64 v[31:32], v[15:16], -v[19:20]
	v_add_f64 v[33:34], v[9:10], -v[13:14]
	;; [unrolled: 1-line block ×4, first 2 shown]
	v_add_f64 v[21:22], v[21:22], v[13:14]
	v_add_f64 v[23:24], v[23:24], v[15:16]
	v_add_f64 v[13:14], v[13:14], -v[17:18]
	v_add_f64 v[15:16], v[15:16], -v[11:12]
	v_lshlrev_b32_e32 v1, 6, v4
	v_add_f64 v[25:26], v[21:22], v[17:18]
	v_add_f64 v[27:28], v[23:24], v[19:20]
	ds_read_b128 v[21:24], v3 offset:8000
	s_waitcnt lgkmcnt(0)
	s_barrier
	v_add_f64 v[41:42], v[11:12], -v[23:24]
	v_add_f64 v[25:26], v[25:26], v[21:22]
	v_add_f64 v[27:28], v[27:28], v[23:24]
	;; [unrolled: 1-line block ×3, first 2 shown]
	v_add_f64 v[9:10], v[9:10], -v[21:22]
	v_add_f64 v[11:12], v[11:12], v[23:24]
	v_add_f64 v[45:46], v[21:22], -v[17:18]
	v_add_f64 v[47:48], v[23:24], -v[19:20]
	;; [unrolled: 1-line block ×3, first 2 shown]
	v_fma_f64 v[21:22], v[29:30], -0.5, v[5:6]
	v_add_f64 v[19:20], v[19:20], -v[23:24]
	v_fma_f64 v[23:24], v[37:38], -0.5, v[7:8]
	v_fma_f64 v[5:6], v[43:44], -0.5, v[5:6]
	;; [unrolled: 1-line block ×3, first 2 shown]
	v_add_f64 v[11:12], v[33:34], v[45:46]
	v_add_f64 v[33:34], v[39:40], v[47:48]
	;; [unrolled: 1-line block ×3, first 2 shown]
	v_fma_f64 v[29:30], v[41:42], s[0:1], v[21:22]
	v_fma_f64 v[21:22], v[41:42], s[14:15], v[21:22]
	;; [unrolled: 1-line block ×6, first 2 shown]
	v_add_f64 v[19:20], v[15:16], v[19:20]
	v_fma_f64 v[29:30], v[31:32], s[2:3], v[29:30]
	v_fma_f64 v[21:22], v[31:32], s[16:17], v[21:22]
	;; [unrolled: 1-line block ×16, first 2 shown]
	v_add_u32_e32 v21, v3, v1
	v_fma_f64 v[15:16], v[19:20], s[24:25], v[15:16]
	v_fma_f64 v[19:20], v[19:20], s[24:25], v[37:38]
	ds_write_b128 v21, v[25:28]
	ds_write_b128 v21, v[5:8] offset:16
	ds_write_b128 v21, v[13:16] offset:32
	ds_write_b128 v21, v[17:20] offset:48
	ds_write_b128 v21, v[9:12] offset:64
	v_mul_lo_u16_e32 v5, 0x67, v4
	v_lshrrev_b16_e32 v55, 9, v5
	v_mul_lo_u16_e32 v5, 5, v55
	v_sub_u16_e32 v56, v4, v5
	v_lshlrev_b32_sdwa v21, v57, v56 dst_sel:DWORD dst_unused:UNUSED_PAD src0_sel:DWORD src1_sel:BYTE_0
	s_waitcnt lgkmcnt(0)
	s_barrier
	global_load_dwordx4 v[5:8], v21, s[8:9] offset:16
	global_load_dwordx4 v[9:12], v21, s[8:9] offset:32
	global_load_dwordx4 v[13:16], v21, s[8:9]
	global_load_dwordx4 v[17:20], v21, s[8:9] offset:48
	ds_read_b128 v[21:24], v3 offset:4000
	ds_read_b128 v[25:28], v3 offset:6000
	;; [unrolled: 1-line block ×3, first 2 shown]
	ds_read_b128 v[33:36], v3
	ds_read_b128 v[37:40], v3 offset:8000
	s_waitcnt vmcnt(0) lgkmcnt(0)
	s_barrier
	v_mul_f64 v[41:42], v[23:24], v[7:8]
	v_mul_f64 v[7:8], v[21:22], v[7:8]
	;; [unrolled: 1-line block ×6, first 2 shown]
	v_fma_f64 v[21:22], v[21:22], v[5:6], v[41:42]
	v_fma_f64 v[23:24], v[23:24], v[5:6], -v[7:8]
	v_fma_f64 v[25:26], v[25:26], v[9:10], v[43:44]
	v_mul_f64 v[5:6], v[37:38], v[19:20]
	v_fma_f64 v[9:10], v[27:28], v[9:10], -v[11:12]
	v_mul_f64 v[7:8], v[39:40], v[19:20]
	v_fma_f64 v[11:12], v[29:30], v[13:14], v[45:46]
	v_fma_f64 v[13:14], v[31:32], v[13:14], -v[15:16]
	v_add_f64 v[15:16], v[21:22], v[25:26]
	v_fma_f64 v[19:20], v[39:40], v[17:18], -v[5:6]
	v_add_f64 v[5:6], v[23:24], v[9:10]
	v_fma_f64 v[17:18], v[37:38], v[17:18], v[7:8]
	v_add_f64 v[29:30], v[11:12], -v[21:22]
	v_add_f64 v[37:38], v[13:14], -v[23:24]
	v_add_f64 v[43:44], v[23:24], -v[9:10]
	v_add_f64 v[47:48], v[21:22], -v[25:26]
	v_fma_f64 v[7:8], v[15:16], -0.5, v[33:34]
	v_add_f64 v[15:16], v[13:14], -v[19:20]
	v_fma_f64 v[5:6], v[5:6], -0.5, v[35:36]
	v_add_f64 v[27:28], v[11:12], -v[17:18]
	v_add_f64 v[31:32], v[17:18], -v[25:26]
	;; [unrolled: 1-line block ×3, first 2 shown]
	v_add_f64 v[51:52], v[13:14], v[19:20]
	v_add_f64 v[53:54], v[33:34], v[11:12]
	v_fma_f64 v[41:42], v[15:16], s[0:1], v[7:8]
	v_fma_f64 v[45:46], v[27:28], s[14:15], v[5:6]
	v_add_f64 v[29:30], v[29:30], v[31:32]
	v_add_f64 v[31:32], v[37:38], v[39:40]
	;; [unrolled: 1-line block ×3, first 2 shown]
	v_fma_f64 v[49:50], v[27:28], s[0:1], v[5:6]
	v_add_f64 v[11:12], v[21:22], -v[11:12]
	v_fma_f64 v[37:38], v[43:44], s[2:3], v[41:42]
	v_fma_f64 v[41:42], v[47:48], s[16:17], v[45:46]
	;; [unrolled: 1-line block ×3, first 2 shown]
	v_fma_f64 v[33:34], v[39:40], -0.5, v[33:34]
	v_fma_f64 v[5:6], v[29:30], s[24:25], v[37:38]
	v_add_f64 v[37:38], v[35:36], v[13:14]
	v_fma_f64 v[35:36], v[51:52], -0.5, v[35:36]
	v_fma_f64 v[39:40], v[43:44], s[16:17], v[45:46]
	v_add_f64 v[45:46], v[53:54], v[21:22]
	v_fma_f64 v[7:8], v[31:32], s[24:25], v[41:42]
	v_fma_f64 v[41:42], v[47:48], s[2:3], v[49:50]
	;; [unrolled: 1-line block ×3, first 2 shown]
	v_add_f64 v[49:50], v[25:26], -v[17:18]
	v_add_f64 v[37:38], v[37:38], v[23:24]
	v_add_f64 v[13:14], v[23:24], -v[13:14]
	v_add_f64 v[23:24], v[9:10], -v[19:20]
	v_fma_f64 v[51:52], v[47:48], s[0:1], v[35:36]
	v_fma_f64 v[33:34], v[43:44], s[0:1], v[33:34]
	v_fma_f64 v[35:36], v[47:48], s[14:15], v[35:36]
	v_add_f64 v[25:26], v[45:46], v[25:26]
	v_add_f64 v[43:44], v[11:12], v[49:50]
	;; [unrolled: 1-line block ×3, first 2 shown]
	v_fma_f64 v[21:22], v[15:16], s[2:3], v[21:22]
	v_add_f64 v[23:24], v[13:14], v[23:24]
	v_fma_f64 v[45:46], v[27:28], s[16:17], v[51:52]
	v_fma_f64 v[33:34], v[15:16], s[16:17], v[33:34]
	;; [unrolled: 1-line block ×3, first 2 shown]
	v_add_f64 v[13:14], v[25:26], v[17:18]
	v_fma_f64 v[9:10], v[29:30], s[24:25], v[39:40]
	v_add_f64 v[15:16], v[37:38], v[19:20]
	v_fma_f64 v[17:18], v[43:44], s[24:25], v[21:22]
	v_fma_f64 v[11:12], v[31:32], s[24:25], v[41:42]
	;; [unrolled: 1-line block ×5, first 2 shown]
	v_mul_u32_u24_e32 v25, 0x190, v55
	v_lshlrev_b32_sdwa v26, v58, v56 dst_sel:DWORD dst_unused:UNUSED_PAD src0_sel:DWORD src1_sel:BYTE_0
	v_add3_u32 v25, 0, v25, v26
	ds_write_b128 v25, v[13:16]
	ds_write_b128 v25, v[5:8] offset:80
	ds_write_b128 v25, v[17:20] offset:160
	;; [unrolled: 1-line block ×4, first 2 shown]
	v_mul_lo_u16_e32 v5, 41, v4
	v_lshrrev_b16_e32 v59, 10, v5
	v_mul_lo_u16_e32 v5, 25, v59
	v_sub_u16_e32 v60, v4, v5
	v_lshlrev_b32_sdwa v20, v57, v60 dst_sel:DWORD dst_unused:UNUSED_PAD src0_sel:DWORD src1_sel:BYTE_0
	s_waitcnt lgkmcnt(0)
	s_barrier
	global_load_dwordx4 v[4:7], v20, s[8:9] offset:320
	global_load_dwordx4 v[8:11], v20, s[8:9] offset:336
	;; [unrolled: 1-line block ×4, first 2 shown]
	ds_read_b128 v[20:23], v3 offset:2000
	ds_read_b128 v[24:27], v3 offset:4000
	;; [unrolled: 1-line block ×4, first 2 shown]
	ds_read_b128 v[36:39], v3
	s_waitcnt vmcnt(0) lgkmcnt(0)
	s_barrier
	v_mul_f64 v[40:41], v[22:23], v[6:7]
	v_mul_f64 v[42:43], v[26:27], v[10:11]
	;; [unrolled: 1-line block ×8, first 2 shown]
	v_fma_f64 v[20:21], v[20:21], v[4:5], v[40:41]
	v_fma_f64 v[24:25], v[24:25], v[8:9], v[42:43]
	;; [unrolled: 1-line block ×3, first 2 shown]
	v_fma_f64 v[8:9], v[26:27], v[8:9], -v[10:11]
	v_fma_f64 v[10:11], v[30:31], v[12:13], -v[14:15]
	v_fma_f64 v[32:33], v[32:33], v[16:17], v[46:47]
	v_fma_f64 v[14:15], v[34:35], v[16:17], -v[18:19]
	v_fma_f64 v[4:5], v[22:23], v[4:5], -v[6:7]
	v_add_f64 v[48:49], v[36:37], v[20:21]
	v_add_f64 v[6:7], v[20:21], -v[24:25]
	v_add_f64 v[16:17], v[24:25], v[28:29]
	v_add_f64 v[42:43], v[24:25], -v[28:29]
	v_add_f64 v[18:19], v[8:9], v[10:11]
	v_add_f64 v[40:41], v[20:21], -v[32:33]
	v_add_f64 v[12:13], v[32:33], -v[28:29]
	v_add_f64 v[22:23], v[4:5], -v[8:9]
	v_add_f64 v[26:27], v[14:15], -v[10:11]
	v_add_f64 v[30:31], v[4:5], -v[14:15]
	v_fma_f64 v[16:17], v[16:17], -0.5, v[36:37]
	v_add_f64 v[44:45], v[20:21], v[32:33]
	v_fma_f64 v[18:19], v[18:19], -0.5, v[38:39]
	v_add_f64 v[46:47], v[4:5], v[14:15]
	v_add_f64 v[50:51], v[38:39], v[4:5]
	v_add_f64 v[34:35], v[8:9], -v[10:11]
	v_add_f64 v[52:53], v[8:9], -v[4:5]
	v_add_f64 v[12:13], v[6:7], v[12:13]
	v_fma_f64 v[4:5], v[30:31], s[0:1], v[16:17]
	v_add_f64 v[22:23], v[22:23], v[26:27]
	v_fma_f64 v[54:55], v[40:41], s[14:15], v[18:19]
	v_fma_f64 v[26:27], v[44:45], -0.5, v[36:37]
	v_fma_f64 v[6:7], v[30:31], s[14:15], v[16:17]
	v_fma_f64 v[16:17], v[40:41], s[0:1], v[18:19]
	v_fma_f64 v[36:37], v[46:47], -0.5, v[38:39]
	v_add_f64 v[20:21], v[24:25], -v[20:21]
	v_add_f64 v[24:25], v[48:49], v[24:25]
	v_add_f64 v[8:9], v[50:51], v[8:9]
	v_fma_f64 v[18:19], v[42:43], s[16:17], v[54:55]
	v_add_f64 v[56:57], v[28:29], -v[32:33]
	v_fma_f64 v[38:39], v[34:35], s[14:15], v[26:27]
	v_fma_f64 v[44:45], v[34:35], s[16:17], v[6:7]
	;; [unrolled: 1-line block ×7, first 2 shown]
	v_add_f64 v[18:19], v[10:11], -v[14:15]
	v_add_f64 v[24:25], v[24:25], v[28:29]
	v_add_f64 v[36:37], v[8:9], v[10:11]
	v_fma_f64 v[16:17], v[42:43], s[2:3], v[16:17]
	v_add_f64 v[20:21], v[20:21], v[56:57]
	v_fma_f64 v[28:29], v[30:31], s[2:3], v[38:39]
	v_fma_f64 v[26:27], v[30:31], s[16:17], v[26:27]
	;; [unrolled: 1-line block ×3, first 2 shown]
	v_add_f64 v[38:39], v[52:53], v[18:19]
	v_fma_f64 v[18:19], v[40:41], s[16:17], v[46:47]
	v_fma_f64 v[4:5], v[12:13], s[24:25], v[4:5]
	;; [unrolled: 1-line block ×3, first 2 shown]
	v_add_f64 v[12:13], v[24:25], v[32:33]
	v_add_f64 v[14:15], v[36:37], v[14:15]
	v_fma_f64 v[10:11], v[22:23], s[24:25], v[16:17]
	v_fma_f64 v[16:17], v[20:21], s[24:25], v[28:29]
	;; [unrolled: 1-line block ×5, first 2 shown]
	v_mul_u32_u24_e32 v24, 0x7d0, v59
	v_lshlrev_b32_sdwa v25, v58, v60 dst_sel:DWORD dst_unused:UNUSED_PAD src0_sel:DWORD src1_sel:BYTE_0
	v_add3_u32 v24, 0, v24, v25
	ds_write_b128 v24, v[12:15]
	ds_write_b128 v24, v[4:7] offset:400
	ds_write_b128 v24, v[16:19] offset:800
	;; [unrolled: 1-line block ×4, first 2 shown]
	s_waitcnt lgkmcnt(0)
	s_barrier
	global_load_dwordx4 v[4:7], v1, s[8:9] offset:1920
	global_load_dwordx4 v[8:11], v1, s[8:9] offset:1936
	;; [unrolled: 1-line block ×4, first 2 shown]
	ds_read_b128 v[20:23], v3 offset:2000
	ds_read_b128 v[24:27], v3 offset:4000
	;; [unrolled: 1-line block ×4, first 2 shown]
	ds_read_b128 v[36:39], v3
	s_mul_i32 s8, s12, s22
	s_mul_i32 s12, s20, s28
	s_lshl_b64 s[12:13], s[12:13], 4
	v_mul_lo_u32 v1, v0, s6
	s_mov_b32 s9, s5
	s_add_u32 s4, s18, s12
	s_addc_u32 s7, s19, s13
	s_lshl_b64 s[8:9], s[8:9], 4
	v_lshl_add_u32 v58, v0, 4, 0
	s_add_u32 s4, s4, s8
	s_addc_u32 s12, s7, s9
	s_lshl_b64 s[8:9], s[10:11], 4
	s_waitcnt vmcnt(0) lgkmcnt(0)
	s_barrier
	v_lshlrev_b64 v[40:41], 4, v[1:2]
	s_add_u32 s7, s4, s8
	s_addc_u32 s8, s12, s9
	v_mov_b32_e32 v59, s8
	v_mul_f64 v[42:43], v[22:23], v[6:7]
	v_mul_f64 v[6:7], v[20:21], v[6:7]
	;; [unrolled: 1-line block ×8, first 2 shown]
	v_fma_f64 v[20:21], v[20:21], v[4:5], v[42:43]
	v_fma_f64 v[4:5], v[22:23], v[4:5], -v[6:7]
	v_fma_f64 v[6:7], v[24:25], v[8:9], v[44:45]
	v_fma_f64 v[8:9], v[26:27], v[8:9], -v[10:11]
	;; [unrolled: 2-line block ×4, first 2 shown]
	v_add_f64 v[18:19], v[36:37], v[20:21]
	v_add_f64 v[22:23], v[38:39], v[4:5]
	v_add_f64 v[32:33], v[20:21], -v[6:7]
	v_add_f64 v[48:49], v[4:5], -v[8:9]
	v_add_f64 v[24:25], v[6:7], v[10:11]
	v_add_f64 v[26:27], v[8:9], v[12:13]
	;; [unrolled: 1-line block ×4, first 2 shown]
	v_add_f64 v[34:35], v[20:21], -v[14:15]
	v_add_f64 v[20:21], v[6:7], -v[20:21]
	;; [unrolled: 1-line block ×8, first 2 shown]
	v_add_f64 v[6:7], v[18:19], v[6:7]
	v_add_f64 v[8:9], v[22:23], v[8:9]
	v_fma_f64 v[18:19], v[24:25], -0.5, v[36:37]
	v_fma_f64 v[22:23], v[26:27], -0.5, v[38:39]
	;; [unrolled: 1-line block ×4, first 2 shown]
	v_add_f64 v[46:47], v[10:11], -v[14:15]
	v_add_f64 v[54:55], v[16:17], -v[12:13]
	v_add_f64 v[28:29], v[32:33], v[44:45]
	v_add_f64 v[32:33], v[4:5], v[56:57]
	;; [unrolled: 1-line block ×4, first 2 shown]
	v_fma_f64 v[8:9], v[50:51], s[0:1], v[18:19]
	v_fma_f64 v[10:11], v[50:51], s[14:15], v[18:19]
	;; [unrolled: 1-line block ×8, first 2 shown]
	v_add_f64 v[30:31], v[48:49], v[54:55]
	v_add_f64 v[4:5], v[4:5], v[14:15]
	v_fma_f64 v[8:9], v[52:53], s[2:3], v[8:9]
	v_fma_f64 v[14:15], v[42:43], s[16:17], v[18:19]
	v_add_f64 v[20:21], v[20:21], v[46:47]
	v_add_f64 v[6:7], v[6:7], v[16:17]
	v_fma_f64 v[12:13], v[50:51], s[2:3], v[12:13]
	v_fma_f64 v[16:17], v[34:35], s[16:17], v[36:37]
	;; [unrolled: 1-line block ×14, first 2 shown]
	ds_write_b128 v3, v[4:7]
	ds_write_b128 v3, v[8:11] offset:2000
	ds_write_b128 v3, v[12:15] offset:4000
	;; [unrolled: 1-line block ×4, first 2 shown]
	s_waitcnt lgkmcnt(0)
	s_barrier
	ds_read_b128 v[3:6], v58
	ds_read_b128 v[7:10], v58 offset:2000
	v_add_co_u32_e32 v11, vcc, s7, v40
	s_mul_i32 s0, s6, 0x7d
	v_addc_co_u32_e32 v12, vcc, v59, v41, vcc
	v_add_u32_e32 v1, s0, v1
	s_waitcnt lgkmcnt(1)
	global_store_dwordx4 v[11:12], v[3:6], off
	s_nop 0
	v_lshlrev_b64 v[3:4], 4, v[1:2]
	v_mov_b32_e32 v5, s8
	v_add_co_u32_e32 v3, vcc, s7, v3
	v_addc_co_u32_e32 v4, vcc, v5, v4, vcc
	s_waitcnt lgkmcnt(0)
	global_store_dwordx4 v[3:4], v[7:10], off
	v_add_u32_e32 v1, s0, v1
	ds_read_b128 v[3:6], v58 offset:4000
	v_lshlrev_b64 v[7:8], 4, v[1:2]
	v_mov_b32_e32 v9, s8
	v_add_co_u32_e32 v11, vcc, s7, v7
	v_addc_co_u32_e32 v12, vcc, v9, v8, vcc
	ds_read_b128 v[7:10], v58 offset:6000
	v_add_u32_e32 v1, s0, v1
	s_waitcnt lgkmcnt(1)
	global_store_dwordx4 v[11:12], v[3:6], off
	s_nop 0
	v_lshlrev_b64 v[3:4], 4, v[1:2]
	v_mov_b32_e32 v5, s8
	v_add_co_u32_e32 v3, vcc, s7, v3
	v_addc_co_u32_e32 v4, vcc, v5, v4, vcc
	v_add_u32_e32 v1, s0, v1
	s_waitcnt lgkmcnt(0)
	global_store_dwordx4 v[3:4], v[7:10], off
	ds_read_b128 v[3:6], v58 offset:8000
	v_lshlrev_b64 v[7:8], 4, v[1:2]
	v_mov_b32_e32 v1, s8
	v_add_co_u32_e32 v7, vcc, s7, v7
	v_addc_co_u32_e32 v8, vcc, v1, v8, vcc
	v_cmp_eq_u32_e32 vcc, 0, v0
	s_waitcnt lgkmcnt(0)
	global_store_dwordx4 v[7:8], v[3:6], off
	s_and_saveexec_b64 s[0:1], vcc
	s_cbranch_execz .LBB0_2
; %bb.1:
	ds_read_b128 v[3:6], v2 offset:10000
	s_mul_i32 s4, s6, 0x271
	s_lshl_b64 s[0:1], s[4:5], 4
	s_add_u32 s0, s7, s0
	s_addc_u32 s1, s8, s1
	s_waitcnt lgkmcnt(0)
	global_store_dwordx4 v2, v[3:6], s[0:1]
.LBB0_2:
	s_endpgm
	.section	.rodata,"a",@progbits
	.p2align	6, 0x0
	.amdhsa_kernel fft_rtc_back_len625_factors_5_5_5_5_wgs_125_tpt_125_dp_op_CI_CI_sbrc_erc_z_xy_aligned
		.amdhsa_group_segment_fixed_size 0
		.amdhsa_private_segment_fixed_size 0
		.amdhsa_kernarg_size 104
		.amdhsa_user_sgpr_count 6
		.amdhsa_user_sgpr_private_segment_buffer 1
		.amdhsa_user_sgpr_dispatch_ptr 0
		.amdhsa_user_sgpr_queue_ptr 0
		.amdhsa_user_sgpr_kernarg_segment_ptr 1
		.amdhsa_user_sgpr_dispatch_id 0
		.amdhsa_user_sgpr_flat_scratch_init 0
		.amdhsa_user_sgpr_private_segment_size 0
		.amdhsa_uses_dynamic_stack 0
		.amdhsa_system_sgpr_private_segment_wavefront_offset 0
		.amdhsa_system_sgpr_workgroup_id_x 1
		.amdhsa_system_sgpr_workgroup_id_y 0
		.amdhsa_system_sgpr_workgroup_id_z 0
		.amdhsa_system_sgpr_workgroup_info 0
		.amdhsa_system_vgpr_workitem_id 0
		.amdhsa_next_free_vgpr 61
		.amdhsa_next_free_sgpr 29
		.amdhsa_reserve_vcc 1
		.amdhsa_reserve_flat_scratch 0
		.amdhsa_float_round_mode_32 0
		.amdhsa_float_round_mode_16_64 0
		.amdhsa_float_denorm_mode_32 3
		.amdhsa_float_denorm_mode_16_64 3
		.amdhsa_dx10_clamp 1
		.amdhsa_ieee_mode 1
		.amdhsa_fp16_overflow 0
		.amdhsa_exception_fp_ieee_invalid_op 0
		.amdhsa_exception_fp_denorm_src 0
		.amdhsa_exception_fp_ieee_div_zero 0
		.amdhsa_exception_fp_ieee_overflow 0
		.amdhsa_exception_fp_ieee_underflow 0
		.amdhsa_exception_fp_ieee_inexact 0
		.amdhsa_exception_int_div_zero 0
	.end_amdhsa_kernel
	.text
.Lfunc_end0:
	.size	fft_rtc_back_len625_factors_5_5_5_5_wgs_125_tpt_125_dp_op_CI_CI_sbrc_erc_z_xy_aligned, .Lfunc_end0-fft_rtc_back_len625_factors_5_5_5_5_wgs_125_tpt_125_dp_op_CI_CI_sbrc_erc_z_xy_aligned
                                        ; -- End function
	.section	.AMDGPU.csdata,"",@progbits
; Kernel info:
; codeLenInByte = 4332
; NumSgprs: 33
; NumVgprs: 61
; ScratchSize: 0
; MemoryBound: 0
; FloatMode: 240
; IeeeMode: 1
; LDSByteSize: 0 bytes/workgroup (compile time only)
; SGPRBlocks: 4
; VGPRBlocks: 15
; NumSGPRsForWavesPerEU: 33
; NumVGPRsForWavesPerEU: 61
; Occupancy: 4
; WaveLimiterHint : 1
; COMPUTE_PGM_RSRC2:SCRATCH_EN: 0
; COMPUTE_PGM_RSRC2:USER_SGPR: 6
; COMPUTE_PGM_RSRC2:TRAP_HANDLER: 0
; COMPUTE_PGM_RSRC2:TGID_X_EN: 1
; COMPUTE_PGM_RSRC2:TGID_Y_EN: 0
; COMPUTE_PGM_RSRC2:TGID_Z_EN: 0
; COMPUTE_PGM_RSRC2:TIDIG_COMP_CNT: 0
	.type	__hip_cuid_5c1197ca53379795,@object ; @__hip_cuid_5c1197ca53379795
	.section	.bss,"aw",@nobits
	.globl	__hip_cuid_5c1197ca53379795
__hip_cuid_5c1197ca53379795:
	.byte	0                               ; 0x0
	.size	__hip_cuid_5c1197ca53379795, 1

	.ident	"AMD clang version 19.0.0git (https://github.com/RadeonOpenCompute/llvm-project roc-6.4.0 25133 c7fe45cf4b819c5991fe208aaa96edf142730f1d)"
	.section	".note.GNU-stack","",@progbits
	.addrsig
	.addrsig_sym __hip_cuid_5c1197ca53379795
	.amdgpu_metadata
---
amdhsa.kernels:
  - .args:
      - .actual_access:  read_only
        .address_space:  global
        .offset:         0
        .size:           8
        .value_kind:     global_buffer
      - .offset:         8
        .size:           8
        .value_kind:     by_value
      - .actual_access:  read_only
        .address_space:  global
        .offset:         16
        .size:           8
        .value_kind:     global_buffer
      - .actual_access:  read_only
        .address_space:  global
        .offset:         24
        .size:           8
        .value_kind:     global_buffer
      - .actual_access:  read_only
        .address_space:  global
        .offset:         32
        .size:           8
        .value_kind:     global_buffer
      - .offset:         40
        .size:           8
        .value_kind:     by_value
      - .actual_access:  read_only
        .address_space:  global
        .offset:         48
        .size:           8
        .value_kind:     global_buffer
      - .actual_access:  read_only
        .address_space:  global
        .offset:         56
        .size:           8
        .value_kind:     global_buffer
      - .offset:         64
        .size:           4
        .value_kind:     by_value
      - .actual_access:  read_only
        .address_space:  global
        .offset:         72
        .size:           8
        .value_kind:     global_buffer
      - .actual_access:  read_only
        .address_space:  global
        .offset:         80
        .size:           8
        .value_kind:     global_buffer
      - .actual_access:  read_only
        .address_space:  global
        .offset:         88
        .size:           8
        .value_kind:     global_buffer
      - .actual_access:  write_only
        .address_space:  global
        .offset:         96
        .size:           8
        .value_kind:     global_buffer
    .group_segment_fixed_size: 0
    .kernarg_segment_align: 8
    .kernarg_segment_size: 104
    .language:       OpenCL C
    .language_version:
      - 2
      - 0
    .max_flat_workgroup_size: 125
    .name:           fft_rtc_back_len625_factors_5_5_5_5_wgs_125_tpt_125_dp_op_CI_CI_sbrc_erc_z_xy_aligned
    .private_segment_fixed_size: 0
    .sgpr_count:     33
    .sgpr_spill_count: 0
    .symbol:         fft_rtc_back_len625_factors_5_5_5_5_wgs_125_tpt_125_dp_op_CI_CI_sbrc_erc_z_xy_aligned.kd
    .uniform_work_group_size: 1
    .uses_dynamic_stack: false
    .vgpr_count:     61
    .vgpr_spill_count: 0
    .wavefront_size: 64
amdhsa.target:   amdgcn-amd-amdhsa--gfx906
amdhsa.version:
  - 1
  - 2
...

	.end_amdgpu_metadata
